;; amdgpu-corpus repo=ROCm/rocFFT kind=compiled arch=gfx906 opt=O3
	.text
	.amdgcn_target "amdgcn-amd-amdhsa--gfx906"
	.amdhsa_code_object_version 6
	.protected	fft_rtc_fwd_len1470_factors_2_3_5_7_7_wgs_210_tpt_210_halfLds_dp_ip_CI_unitstride_sbrr_dirReg ; -- Begin function fft_rtc_fwd_len1470_factors_2_3_5_7_7_wgs_210_tpt_210_halfLds_dp_ip_CI_unitstride_sbrr_dirReg
	.globl	fft_rtc_fwd_len1470_factors_2_3_5_7_7_wgs_210_tpt_210_halfLds_dp_ip_CI_unitstride_sbrr_dirReg
	.p2align	8
	.type	fft_rtc_fwd_len1470_factors_2_3_5_7_7_wgs_210_tpt_210_halfLds_dp_ip_CI_unitstride_sbrr_dirReg,@function
fft_rtc_fwd_len1470_factors_2_3_5_7_7_wgs_210_tpt_210_halfLds_dp_ip_CI_unitstride_sbrr_dirReg: ; @fft_rtc_fwd_len1470_factors_2_3_5_7_7_wgs_210_tpt_210_halfLds_dp_ip_CI_unitstride_sbrr_dirReg
; %bb.0:
	s_load_dwordx2 s[12:13], s[4:5], 0x50
	s_load_dwordx4 s[8:11], s[4:5], 0x0
	s_load_dwordx2 s[2:3], s[4:5], 0x18
	v_mul_u32_u24_e32 v1, 0x139, v0
	v_add_u32_sdwa v5, s6, v1 dst_sel:DWORD dst_unused:UNUSED_PAD src0_sel:DWORD src1_sel:WORD_1
	v_mov_b32_e32 v3, 0
	s_waitcnt lgkmcnt(0)
	v_cmp_lt_u64_e64 s[0:1], s[10:11], 2
	v_mov_b32_e32 v1, 0
	v_mov_b32_e32 v6, v3
	s_and_b64 vcc, exec, s[0:1]
	v_mov_b32_e32 v2, 0
	s_cbranch_vccnz .LBB0_8
; %bb.1:
	s_load_dwordx2 s[0:1], s[4:5], 0x10
	s_add_u32 s6, s2, 8
	s_addc_u32 s7, s3, 0
	v_mov_b32_e32 v1, 0
	v_mov_b32_e32 v2, 0
	s_waitcnt lgkmcnt(0)
	s_add_u32 s14, s0, 8
	s_addc_u32 s15, s1, 0
	s_mov_b64 s[16:17], 1
.LBB0_2:                                ; =>This Inner Loop Header: Depth=1
	s_load_dwordx2 s[18:19], s[14:15], 0x0
                                        ; implicit-def: $vgpr7_vgpr8
	s_waitcnt lgkmcnt(0)
	v_or_b32_e32 v4, s19, v6
	v_cmp_ne_u64_e32 vcc, 0, v[3:4]
	s_and_saveexec_b64 s[0:1], vcc
	s_xor_b64 s[20:21], exec, s[0:1]
	s_cbranch_execz .LBB0_4
; %bb.3:                                ;   in Loop: Header=BB0_2 Depth=1
	v_cvt_f32_u32_e32 v4, s18
	v_cvt_f32_u32_e32 v7, s19
	s_sub_u32 s0, 0, s18
	s_subb_u32 s1, 0, s19
	v_mac_f32_e32 v4, 0x4f800000, v7
	v_rcp_f32_e32 v4, v4
	v_mul_f32_e32 v4, 0x5f7ffffc, v4
	v_mul_f32_e32 v7, 0x2f800000, v4
	v_trunc_f32_e32 v7, v7
	v_mac_f32_e32 v4, 0xcf800000, v7
	v_cvt_u32_f32_e32 v7, v7
	v_cvt_u32_f32_e32 v4, v4
	v_mul_lo_u32 v8, s0, v7
	v_mul_hi_u32 v9, s0, v4
	v_mul_lo_u32 v11, s1, v4
	v_mul_lo_u32 v10, s0, v4
	v_add_u32_e32 v8, v9, v8
	v_add_u32_e32 v8, v8, v11
	v_mul_hi_u32 v9, v4, v10
	v_mul_lo_u32 v11, v4, v8
	v_mul_hi_u32 v13, v4, v8
	v_mul_hi_u32 v12, v7, v10
	v_mul_lo_u32 v10, v7, v10
	v_mul_hi_u32 v14, v7, v8
	v_add_co_u32_e32 v9, vcc, v9, v11
	v_addc_co_u32_e32 v11, vcc, 0, v13, vcc
	v_mul_lo_u32 v8, v7, v8
	v_add_co_u32_e32 v9, vcc, v9, v10
	v_addc_co_u32_e32 v9, vcc, v11, v12, vcc
	v_addc_co_u32_e32 v10, vcc, 0, v14, vcc
	v_add_co_u32_e32 v8, vcc, v9, v8
	v_addc_co_u32_e32 v9, vcc, 0, v10, vcc
	v_add_co_u32_e32 v4, vcc, v4, v8
	v_addc_co_u32_e32 v7, vcc, v7, v9, vcc
	v_mul_lo_u32 v8, s0, v7
	v_mul_hi_u32 v9, s0, v4
	v_mul_lo_u32 v10, s1, v4
	v_mul_lo_u32 v11, s0, v4
	v_add_u32_e32 v8, v9, v8
	v_add_u32_e32 v8, v8, v10
	v_mul_lo_u32 v12, v4, v8
	v_mul_hi_u32 v13, v4, v11
	v_mul_hi_u32 v14, v4, v8
	;; [unrolled: 1-line block ×3, first 2 shown]
	v_mul_lo_u32 v11, v7, v11
	v_mul_hi_u32 v9, v7, v8
	v_add_co_u32_e32 v12, vcc, v13, v12
	v_addc_co_u32_e32 v13, vcc, 0, v14, vcc
	v_mul_lo_u32 v8, v7, v8
	v_add_co_u32_e32 v11, vcc, v12, v11
	v_addc_co_u32_e32 v10, vcc, v13, v10, vcc
	v_addc_co_u32_e32 v9, vcc, 0, v9, vcc
	v_add_co_u32_e32 v8, vcc, v10, v8
	v_addc_co_u32_e32 v9, vcc, 0, v9, vcc
	v_add_co_u32_e32 v4, vcc, v4, v8
	v_addc_co_u32_e32 v9, vcc, v7, v9, vcc
	v_mad_u64_u32 v[7:8], s[0:1], v5, v9, 0
	v_mul_hi_u32 v10, v5, v4
	v_add_co_u32_e32 v11, vcc, v10, v7
	v_addc_co_u32_e32 v12, vcc, 0, v8, vcc
	v_mad_u64_u32 v[7:8], s[0:1], v6, v4, 0
	v_mad_u64_u32 v[9:10], s[0:1], v6, v9, 0
	v_add_co_u32_e32 v4, vcc, v11, v7
	v_addc_co_u32_e32 v4, vcc, v12, v8, vcc
	v_addc_co_u32_e32 v7, vcc, 0, v10, vcc
	v_add_co_u32_e32 v4, vcc, v4, v9
	v_addc_co_u32_e32 v9, vcc, 0, v7, vcc
	v_mul_lo_u32 v10, s19, v4
	v_mul_lo_u32 v11, s18, v9
	v_mad_u64_u32 v[7:8], s[0:1], s18, v4, 0
	v_add3_u32 v8, v8, v11, v10
	v_sub_u32_e32 v10, v6, v8
	v_mov_b32_e32 v11, s19
	v_sub_co_u32_e32 v7, vcc, v5, v7
	v_subb_co_u32_e64 v10, s[0:1], v10, v11, vcc
	v_subrev_co_u32_e64 v11, s[0:1], s18, v7
	v_subbrev_co_u32_e64 v10, s[0:1], 0, v10, s[0:1]
	v_cmp_le_u32_e64 s[0:1], s19, v10
	v_cndmask_b32_e64 v12, 0, -1, s[0:1]
	v_cmp_le_u32_e64 s[0:1], s18, v11
	v_cndmask_b32_e64 v11, 0, -1, s[0:1]
	v_cmp_eq_u32_e64 s[0:1], s19, v10
	v_cndmask_b32_e64 v10, v12, v11, s[0:1]
	v_add_co_u32_e64 v11, s[0:1], 2, v4
	v_addc_co_u32_e64 v12, s[0:1], 0, v9, s[0:1]
	v_add_co_u32_e64 v13, s[0:1], 1, v4
	v_addc_co_u32_e64 v14, s[0:1], 0, v9, s[0:1]
	v_subb_co_u32_e32 v8, vcc, v6, v8, vcc
	v_cmp_ne_u32_e64 s[0:1], 0, v10
	v_cmp_le_u32_e32 vcc, s19, v8
	v_cndmask_b32_e64 v10, v14, v12, s[0:1]
	v_cndmask_b32_e64 v12, 0, -1, vcc
	v_cmp_le_u32_e32 vcc, s18, v7
	v_cndmask_b32_e64 v7, 0, -1, vcc
	v_cmp_eq_u32_e32 vcc, s19, v8
	v_cndmask_b32_e32 v7, v12, v7, vcc
	v_cmp_ne_u32_e32 vcc, 0, v7
	v_cndmask_b32_e64 v7, v13, v11, s[0:1]
	v_cndmask_b32_e32 v8, v9, v10, vcc
	v_cndmask_b32_e32 v7, v4, v7, vcc
.LBB0_4:                                ;   in Loop: Header=BB0_2 Depth=1
	s_andn2_saveexec_b64 s[0:1], s[20:21]
	s_cbranch_execz .LBB0_6
; %bb.5:                                ;   in Loop: Header=BB0_2 Depth=1
	v_cvt_f32_u32_e32 v4, s18
	s_sub_i32 s20, 0, s18
	v_rcp_iflag_f32_e32 v4, v4
	v_mul_f32_e32 v4, 0x4f7ffffe, v4
	v_cvt_u32_f32_e32 v4, v4
	v_mul_lo_u32 v7, s20, v4
	v_mul_hi_u32 v7, v4, v7
	v_add_u32_e32 v4, v4, v7
	v_mul_hi_u32 v4, v5, v4
	v_mul_lo_u32 v7, v4, s18
	v_add_u32_e32 v8, 1, v4
	v_sub_u32_e32 v7, v5, v7
	v_subrev_u32_e32 v9, s18, v7
	v_cmp_le_u32_e32 vcc, s18, v7
	v_cndmask_b32_e32 v7, v7, v9, vcc
	v_cndmask_b32_e32 v4, v4, v8, vcc
	v_add_u32_e32 v8, 1, v4
	v_cmp_le_u32_e32 vcc, s18, v7
	v_cndmask_b32_e32 v7, v4, v8, vcc
	v_mov_b32_e32 v8, v3
.LBB0_6:                                ;   in Loop: Header=BB0_2 Depth=1
	s_or_b64 exec, exec, s[0:1]
	v_mul_lo_u32 v4, v8, s18
	v_mul_lo_u32 v11, v7, s19
	v_mad_u64_u32 v[9:10], s[0:1], v7, s18, 0
	s_load_dwordx2 s[0:1], s[6:7], 0x0
	s_add_u32 s16, s16, 1
	v_add3_u32 v4, v10, v11, v4
	v_sub_co_u32_e32 v5, vcc, v5, v9
	v_subb_co_u32_e32 v4, vcc, v6, v4, vcc
	s_waitcnt lgkmcnt(0)
	v_mul_lo_u32 v4, s0, v4
	v_mul_lo_u32 v6, s1, v5
	v_mad_u64_u32 v[1:2], s[0:1], s0, v5, v[1:2]
	s_addc_u32 s17, s17, 0
	s_add_u32 s6, s6, 8
	v_add3_u32 v2, v6, v2, v4
	v_mov_b32_e32 v4, s10
	v_mov_b32_e32 v5, s11
	s_addc_u32 s7, s7, 0
	v_cmp_ge_u64_e32 vcc, s[16:17], v[4:5]
	s_add_u32 s14, s14, 8
	s_addc_u32 s15, s15, 0
	s_cbranch_vccnz .LBB0_9
; %bb.7:                                ;   in Loop: Header=BB0_2 Depth=1
	v_mov_b32_e32 v5, v7
	v_mov_b32_e32 v6, v8
	s_branch .LBB0_2
.LBB0_8:
	v_mov_b32_e32 v8, v6
	v_mov_b32_e32 v7, v5
.LBB0_9:
	s_lshl_b64 s[0:1], s[10:11], 3
	s_add_u32 s0, s2, s0
	s_addc_u32 s1, s3, s1
	s_load_dwordx2 s[2:3], s[0:1], 0x0
	s_load_dwordx2 s[6:7], s[4:5], 0x20
	v_mov_b32_e32 v44, 0
                                        ; implicit-def: $vgpr40_vgpr41
                                        ; implicit-def: $vgpr30_vgpr31
                                        ; implicit-def: $vgpr22_vgpr23
                                        ; implicit-def: $vgpr12_vgpr13
                                        ; implicit-def: $vgpr18_vgpr19
                                        ; implicit-def: $vgpr26_vgpr27
	s_waitcnt lgkmcnt(0)
	v_mad_u64_u32 v[1:2], s[0:1], s2, v7, v[1:2]
	v_mul_lo_u32 v3, s2, v8
	v_mul_lo_u32 v4, s3, v7
	s_mov_b32 s0, 0x1381382
	v_mul_hi_u32 v5, v0, s0
	v_cmp_gt_u64_e64 s[0:1], s[6:7], v[7:8]
	v_add3_u32 v2, v4, v2, v3
	v_lshlrev_b64 v[42:43], 4, v[1:2]
	v_mul_u32_u24_e32 v3, 0xd2, v5
	v_sub_u32_e32 v45, v0, v3
                                        ; implicit-def: $vgpr2_vgpr3
                                        ; implicit-def: $vgpr8_vgpr9
	s_and_saveexec_b64 s[2:3], s[0:1]
	s_cbranch_execz .LBB0_13
; %bb.10:
	v_mov_b32_e32 v46, 0
	v_mov_b32_e32 v0, s13
	v_add_co_u32_e32 v2, vcc, s12, v42
	v_addc_co_u32_e32 v3, vcc, v0, v43, vcc
	v_lshlrev_b64 v[0:1], 4, v[45:46]
	s_movk_i32 s4, 0x69
	v_add_co_u32_e32 v4, vcc, v2, v0
	v_addc_co_u32_e32 v5, vcc, v3, v1, vcc
	v_add_co_u32_e32 v10, vcc, 0x2000, v4
	v_addc_co_u32_e32 v11, vcc, 0, v5, vcc
	;; [unrolled: 2-line block ×4, first 2 shown]
	v_add_co_u32_e32 v28, vcc, 0x4000, v4
	global_load_dwordx4 v[6:9], v[10:11], off offset:3568
	global_load_dwordx4 v[0:3], v[12:13], off offset:2832
	v_addc_co_u32_e32 v29, vcc, 0, v5, vcc
	global_load_dwordx4 v[10:13], v[14:15], off offset:2624
	global_load_dwordx4 v[20:23], v[28:29], off offset:2096
	global_load_dwordx4 v[24:27], v[4:5], off
	global_load_dwordx4 v[16:19], v[4:5], off offset:3360
	v_cmp_gt_u32_e32 vcc, s4, v45
                                        ; implicit-def: $vgpr28_vgpr29
                                        ; implicit-def: $vgpr38_vgpr39
	s_and_saveexec_b64 s[4:5], vcc
	s_cbranch_execz .LBB0_12
; %bb.11:
	v_add_co_u32_e32 v14, vcc, 0x2000, v4
	v_addc_co_u32_e32 v15, vcc, 0, v5, vcc
	v_add_co_u32_e32 v4, vcc, 0x5000, v4
	v_addc_co_u32_e32 v5, vcc, 0, v5, vcc
	global_load_dwordx4 v[28:31], v[14:15], off offset:1888
	global_load_dwordx4 v[38:41], v[4:5], off offset:1360
.LBB0_12:
	s_or_b64 exec, exec, s[4:5]
	v_mov_b32_e32 v44, v45
.LBB0_13:
	s_or_b64 exec, exec, s[2:3]
	s_waitcnt vmcnt(1)
	v_add_f64 v[34:35], v[24:25], -v[6:7]
	s_waitcnt vmcnt(0)
	v_add_f64 v[6:7], v[28:29], -v[38:39]
	v_add_f64 v[48:49], v[16:17], -v[0:1]
	;; [unrolled: 1-line block ×3, first 2 shown]
	v_add_u32_e32 v55, 0xd2, v45
	v_add_u32_e32 v56, 0x1a4, v45
	s_movk_i32 s2, 0x69
	v_add_u32_e32 v0, 0x276, v45
	v_fma_f64 v[32:33], v[24:25], 2.0, -v[34:35]
	v_fma_f64 v[4:5], v[28:29], 2.0, -v[6:7]
	;; [unrolled: 1-line block ×4, first 2 shown]
	v_lshl_add_u32 v20, v45, 4, 0
	v_lshl_add_u32 v21, v55, 4, 0
	;; [unrolled: 1-line block ×3, first 2 shown]
	v_cmp_gt_u32_e32 vcc, s2, v45
	v_lshl_add_u32 v10, v0, 4, 0
	ds_write_b128 v20, v[32:35]
	ds_write_b128 v21, v[46:49]
	;; [unrolled: 1-line block ×3, first 2 shown]
	s_and_saveexec_b64 s[2:3], vcc
	s_cbranch_execz .LBB0_15
; %bb.14:
	ds_write_b128 v10, v[4:7]
.LBB0_15:
	s_or_b64 exec, exec, s[2:3]
	v_lshlrev_b32_e32 v0, 3, v45
	v_sub_u32_e32 v1, v20, v0
	s_waitcnt lgkmcnt(0)
	s_barrier
	ds_read2_b64 v[14:17], v1 offset1:210
	v_add_u32_e32 v24, 0xe00, v1
	v_add_u32_e32 v1, 0x1e00, v1
	ds_read2_b64 v[32:35], v24 offset0:42 offset1:252
	ds_read2_b64 v[36:39], v1 offset0:20 offset1:230
	v_sub_u32_e32 v0, 0, v0
	s_movk_i32 s2, 0x46
	v_cmp_gt_u32_e64 s[2:3], s2, v45
	v_add_u32_e32 v54, v20, v0
                                        ; implicit-def: $vgpr28_vgpr29
	s_and_saveexec_b64 s[4:5], s[2:3]
	s_cbranch_execz .LBB0_17
; %bb.16:
	ds_read_b64 v[4:5], v54 offset:3360
	ds_read_b64 v[6:7], v54 offset:7280
	;; [unrolled: 1-line block ×3, first 2 shown]
.LBB0_17:
	s_or_b64 exec, exec, s[4:5]
	v_add_f64 v[24:25], v[26:27], -v[8:9]
	v_add_f64 v[48:49], v[18:19], -v[2:3]
	;; [unrolled: 1-line block ×4, first 2 shown]
	s_waitcnt lgkmcnt(0)
	s_barrier
	v_fma_f64 v[22:23], v[26:27], 2.0, -v[24:25]
	v_fma_f64 v[46:47], v[18:19], 2.0, -v[48:49]
	;; [unrolled: 1-line block ×4, first 2 shown]
	ds_write_b128 v20, v[22:25]
	ds_write_b128 v21, v[46:49]
	;; [unrolled: 1-line block ×3, first 2 shown]
	s_and_saveexec_b64 s[4:5], vcc
	s_cbranch_execz .LBB0_19
; %bb.18:
	ds_write_b128 v10, v[0:3]
.LBB0_19:
	s_or_b64 exec, exec, s[4:5]
	v_add_u32_e32 v12, 0xe00, v54
	s_waitcnt lgkmcnt(0)
	s_barrier
	ds_read2_b64 v[18:21], v12 offset0:42 offset1:252
	v_add_u32_e32 v12, 0x1e00, v54
	ds_read2_b64 v[8:11], v54 offset1:210
	ds_read2_b64 v[22:25], v12 offset0:20 offset1:230
                                        ; implicit-def: $vgpr12_vgpr13
	s_and_saveexec_b64 s[4:5], s[2:3]
	s_cbranch_execz .LBB0_21
; %bb.20:
	ds_read_b64 v[0:1], v54 offset:3360
	ds_read_b64 v[2:3], v54 offset:7280
	;; [unrolled: 1-line block ×3, first 2 shown]
.LBB0_21:
	s_or_b64 exec, exec, s[4:5]
	v_and_b32_e32 v57, 1, v45
	v_lshlrev_b32_e32 v26, 5, v57
	global_load_dwordx4 v[58:61], v26, s[8:9] offset:16
	global_load_dwordx4 v[62:65], v26, s[8:9]
	v_lshrrev_b32_e32 v26, 1, v45
	v_lshrrev_b32_e32 v27, 1, v55
	v_mul_u32_u24_e32 v26, 6, v26
	v_mul_u32_u24_e32 v27, 6, v27
	v_or_b32_e32 v76, v26, v57
	v_or_b32_e32 v77, v27, v57
	s_mov_b32 s4, 0xe8584caa
	s_mov_b32 s5, 0x3febb67a
	;; [unrolled: 1-line block ×4, first 2 shown]
	v_lshrrev_b32_e32 v56, 1, v56
	s_waitcnt vmcnt(0) lgkmcnt(0)
	s_barrier
	v_mul_f64 v[26:27], v[22:23], v[60:61]
	v_mul_f64 v[30:31], v[24:25], v[60:61]
	;; [unrolled: 1-line block ×12, first 2 shown]
	v_fma_f64 v[46:47], v[36:37], v[58:59], -v[26:27]
	v_fma_f64 v[38:39], v[38:39], v[58:59], -v[30:31]
	v_fma_f64 v[50:51], v[22:23], v[58:59], v[40:41]
	v_fma_f64 v[48:49], v[32:33], v[62:63], -v[48:49]
	v_fma_f64 v[34:35], v[34:35], v[62:63], -v[68:69]
	;; [unrolled: 1-line block ×4, first 2 shown]
	v_fma_f64 v[40:41], v[24:25], v[58:59], v[52:53]
	v_fma_f64 v[52:53], v[18:19], v[62:63], v[70:71]
	;; [unrolled: 1-line block ×4, first 2 shown]
	v_add_f64 v[6:7], v[48:49], v[46:47]
	v_fma_f64 v[20:21], v[2:3], v[62:63], v[64:65]
	v_add_f64 v[2:3], v[34:35], v[38:39]
	v_add_f64 v[24:25], v[28:29], v[22:23]
	;; [unrolled: 1-line block ×3, first 2 shown]
	v_add_f64 v[26:27], v[52:53], -v[50:51]
	v_add_f64 v[30:31], v[16:17], v[34:35]
	v_add_f64 v[32:33], v[4:5], v[28:29]
	v_fma_f64 v[6:7], v[6:7], -0.5, v[14:15]
	v_add_f64 v[14:15], v[12:13], -v[40:41]
	v_fma_f64 v[2:3], v[2:3], -0.5, v[16:17]
	v_add_f64 v[16:17], v[20:21], -v[36:37]
	v_fma_f64 v[4:5], v[24:25], -0.5, v[4:5]
	v_add_f64 v[18:19], v[18:19], v[46:47]
	v_add_f64 v[30:31], v[30:31], v[38:39]
	;; [unrolled: 1-line block ×3, first 2 shown]
	v_fma_f64 v[60:61], v[26:27], s[4:5], v[6:7]
	v_fma_f64 v[6:7], v[26:27], s[6:7], v[6:7]
	;; [unrolled: 1-line block ×6, first 2 shown]
	v_lshl_add_u32 v59, v76, 3, 0
	v_lshl_add_u32 v58, v77, 3, 0
	ds_write2_b64 v59, v[18:19], v[60:61] offset1:2
	ds_write_b64 v59, v[6:7] offset:32
	ds_write2_b64 v58, v[30:31], v[62:63] offset1:2
	ds_write_b64 v58, v[2:3] offset:32
	s_and_saveexec_b64 s[4:5], s[2:3]
	s_cbranch_execz .LBB0_23
; %bb.22:
	v_mul_u32_u24_e32 v4, 6, v56
	v_or_b32_e32 v4, v4, v57
	v_lshl_add_u32 v4, v4, 3, 0
	ds_write2_b64 v4, v[32:33], v[26:27] offset1:2
	ds_write_b64 v4, v[24:25] offset:32
.LBB0_23:
	s_or_b64 exec, exec, s[4:5]
	s_waitcnt lgkmcnt(0)
	s_barrier
	ds_read_b64 v[30:31], v54
	ds_read_b64 v[6:7], v54 offset:2352
	ds_read_b64 v[14:15], v54 offset:4704
	;; [unrolled: 1-line block ×4, first 2 shown]
	s_movk_i32 s4, 0x54
	v_cmp_gt_u32_e32 vcc, s4, v45
                                        ; implicit-def: $vgpr4_vgpr5
	s_and_saveexec_b64 s[4:5], vcc
	s_cbranch_execz .LBB0_25
; %bb.24:
	ds_read_b64 v[2:3], v54 offset:1680
	ds_read_b64 v[32:33], v54 offset:4032
	;; [unrolled: 1-line block ×5, first 2 shown]
.LBB0_25:
	s_or_b64 exec, exec, s[4:5]
	v_add_f64 v[60:61], v[8:9], v[52:53]
	v_add_f64 v[46:47], v[48:49], -v[46:47]
	s_mov_b32 s4, 0xe8584caa
	s_mov_b32 s5, 0xbfebb67a
	;; [unrolled: 1-line block ×4, first 2 shown]
	s_waitcnt lgkmcnt(0)
	s_barrier
	v_add_f64 v[60:61], v[60:61], v[50:51]
	v_add_f64 v[50:51], v[52:53], v[50:51]
	v_fma_f64 v[8:9], v[50:51], -0.5, v[8:9]
	v_fma_f64 v[48:49], v[46:47], s[4:5], v[8:9]
	v_fma_f64 v[8:9], v[46:47], s[6:7], v[8:9]
	v_add_f64 v[46:47], v[10:11], v[12:13]
	v_add_f64 v[12:13], v[12:13], v[40:41]
	;; [unrolled: 1-line block ×3, first 2 shown]
	v_fma_f64 v[10:11], v[12:13], -0.5, v[10:11]
	v_add_f64 v[12:13], v[34:35], -v[38:39]
	v_fma_f64 v[38:39], v[12:13], s[4:5], v[10:11]
	v_fma_f64 v[12:13], v[12:13], s[6:7], v[10:11]
	v_add_f64 v[10:11], v[0:1], v[20:21]
	ds_write2_b64 v59, v[60:61], v[48:49] offset1:2
	ds_write_b64 v59, v[8:9] offset:32
	ds_write2_b64 v58, v[46:47], v[38:39] offset1:2
	ds_write_b64 v58, v[12:13] offset:32
	v_add_f64 v[34:35], v[10:11], v[36:37]
	v_add_f64 v[10:11], v[20:21], v[36:37]
	v_fma_f64 v[0:1], v[10:11], -0.5, v[0:1]
	v_add_f64 v[10:11], v[28:29], -v[22:23]
	v_fma_f64 v[36:37], v[10:11], s[4:5], v[0:1]
	v_fma_f64 v[40:41], v[10:11], s[6:7], v[0:1]
	s_and_saveexec_b64 s[4:5], s[2:3]
	s_cbranch_execz .LBB0_27
; %bb.26:
	v_mul_u32_u24_e32 v0, 6, v56
	v_or_b32_e32 v0, v0, v57
	v_lshl_add_u32 v0, v0, 3, 0
	ds_write2_b64 v0, v[34:35], v[36:37] offset1:2
	ds_write_b64 v0, v[40:41] offset:32
.LBB0_27:
	s_or_b64 exec, exec, s[4:5]
	s_waitcnt lgkmcnt(0)
	s_barrier
	ds_read_b64 v[0:1], v54
	ds_read_b64 v[28:29], v54 offset:2352
	ds_read_b64 v[10:11], v54 offset:4704
	;; [unrolled: 1-line block ×4, first 2 shown]
                                        ; implicit-def: $vgpr20_vgpr21
	s_and_saveexec_b64 s[2:3], vcc
	s_cbranch_execz .LBB0_29
; %bb.28:
	ds_read_b64 v[12:13], v54 offset:1680
	ds_read_b64 v[34:35], v54 offset:4032
	;; [unrolled: 1-line block ×5, first 2 shown]
.LBB0_29:
	s_or_b64 exec, exec, s[2:3]
	s_movk_i32 s2, 0xab
	v_mul_lo_u16_sdwa v8, v45, s2 dst_sel:DWORD dst_unused:UNUSED_PAD src0_sel:BYTE_0 src1_sel:DWORD
	v_lshrrev_b16_e32 v67, 10, v8
	v_mul_lo_u16_e32 v8, 6, v67
	v_sub_u16_e32 v66, v45, v8
	v_mov_b32_e32 v8, 6
	v_lshlrev_b32_sdwa v8, v8, v66 dst_sel:DWORD dst_unused:UNUSED_PAD src0_sel:DWORD src1_sel:BYTE_0
	global_load_dwordx4 v[46:49], v8, s[8:9] offset:64
	global_load_dwordx4 v[50:53], v8, s[8:9] offset:80
	;; [unrolled: 1-line block ×4, first 2 shown]
	s_mov_b32 s2, 0xaaab
	s_mov_b32 s15, 0xbfee6f0e
	;; [unrolled: 1-line block ×8, first 2 shown]
	s_waitcnt vmcnt(3) lgkmcnt(3)
	v_mul_f64 v[8:9], v[28:29], v[48:49]
	v_mul_f64 v[48:49], v[6:7], v[48:49]
	s_waitcnt vmcnt(2) lgkmcnt(2)
	v_mul_f64 v[64:65], v[10:11], v[52:53]
	v_fma_f64 v[8:9], v[6:7], v[46:47], -v[8:9]
	v_fma_f64 v[6:7], v[28:29], v[46:47], v[48:49]
	v_mul_f64 v[28:29], v[14:15], v[52:53]
	v_mul_u32_u24_sdwa v46, v55, s2 dst_sel:DWORD dst_unused:UNUSED_PAD src0_sel:WORD_0 src1_sel:DWORD
	v_lshrrev_b32_e32 v68, 18, v46
	v_mul_lo_u16_e32 v46, 6, v68
	v_sub_u16_e32 v69, v55, v46
	v_lshlrev_b32_e32 v70, 6, v69
	global_load_dwordx4 v[46:49], v70, s[8:9] offset:64
	v_fma_f64 v[14:15], v[14:15], v[50:51], -v[64:65]
	v_fma_f64 v[10:11], v[10:11], v[50:51], v[28:29]
	global_load_dwordx4 v[50:53], v70, s[8:9] offset:80
	s_waitcnt vmcnt(3) lgkmcnt(1)
	v_mul_f64 v[28:29], v[22:23], v[58:59]
	v_mul_f64 v[58:59], v[16:17], v[58:59]
	s_mov_b32 s2, 0x134454ff
	s_mov_b32 s3, 0x3fee6f0e
	;; [unrolled: 1-line block ×3, first 2 shown]
	v_fma_f64 v[16:17], v[16:17], v[56:57], -v[28:29]
	v_fma_f64 v[22:23], v[22:23], v[56:57], v[58:59]
	global_load_dwordx4 v[55:58], v70, s[8:9] offset:96
	s_waitcnt vmcnt(3) lgkmcnt(0)
	v_mul_f64 v[28:29], v[38:39], v[62:63]
	v_fma_f64 v[28:29], v[18:19], v[60:61], -v[28:29]
	v_mul_f64 v[18:19], v[18:19], v[62:63]
	v_mov_b32_e32 v63, 3
	v_fma_f64 v[18:19], v[38:39], v[60:61], v[18:19]
	global_load_dwordx4 v[59:62], v70, s[8:9] offset:112
	v_lshlrev_b32_sdwa v70, v63, v66 dst_sel:DWORD dst_unused:UNUSED_PAD src0_sel:DWORD src1_sel:BYTE_0
	s_waitcnt vmcnt(0)
	s_barrier
	v_mul_f64 v[38:39], v[34:35], v[48:49]
	v_mul_f64 v[48:49], v[32:33], v[48:49]
	;; [unrolled: 1-line block ×3, first 2 shown]
	v_fma_f64 v[38:39], v[32:33], v[46:47], -v[38:39]
	v_fma_f64 v[32:33], v[34:35], v[46:47], v[48:49]
	v_mul_f64 v[46:47], v[26:27], v[52:53]
	v_fma_f64 v[34:35], v[26:27], v[50:51], -v[63:64]
	v_add_f64 v[63:64], v[16:17], -v[28:29]
	v_mul_f64 v[48:49], v[40:41], v[57:58]
	v_mul_f64 v[52:53], v[24:25], v[57:58]
	v_add_f64 v[57:58], v[14:15], -v[8:9]
	v_fma_f64 v[26:27], v[36:37], v[50:51], v[46:47]
	v_add_f64 v[46:47], v[8:9], v[28:29]
	v_add_f64 v[50:51], v[6:7], -v[18:19]
	v_fma_f64 v[36:37], v[24:25], v[55:56], -v[48:49]
	v_fma_f64 v[24:25], v[40:41], v[55:56], v[52:53]
	v_add_f64 v[40:41], v[14:15], v[16:17]
	v_add_f64 v[48:49], v[30:31], v[8:9]
	v_add_f64 v[52:53], v[8:9], -v[14:15]
	v_add_f64 v[55:56], v[28:29], -v[16:17]
	v_fma_f64 v[40:41], v[40:41], -0.5, v[30:31]
	v_fma_f64 v[30:31], v[46:47], -0.5, v[30:31]
	v_add_f64 v[46:47], v[10:11], -v[22:23]
	v_add_f64 v[48:49], v[48:49], v[14:15]
	v_add_f64 v[52:53], v[52:53], v[55:56]
	;; [unrolled: 1-line block ×3, first 2 shown]
	v_fma_f64 v[57:58], v[50:51], s[2:3], v[40:41]
	v_fma_f64 v[65:66], v[50:51], s[14:15], v[40:41]
	;; [unrolled: 1-line block ×4, first 2 shown]
	v_add_f64 v[48:49], v[48:49], v[16:17]
	v_mul_u32_u24_e32 v41, 0xf0, v67
	v_mul_lo_u16_e32 v40, 30, v68
	v_fma_f64 v[57:58], v[46:47], s[6:7], v[57:58]
	v_fma_f64 v[46:47], v[46:47], s[10:11], v[65:66]
	;; [unrolled: 1-line block ×4, first 2 shown]
	v_mul_f64 v[50:51], v[20:21], v[61:62]
	v_mul_f64 v[61:62], v[4:5], v[61:62]
	v_add_f64 v[48:49], v[48:49], v[28:29]
	v_fma_f64 v[57:58], v[52:53], s[4:5], v[57:58]
	v_fma_f64 v[52:53], v[52:53], s[4:5], v[46:47]
	v_fma_f64 v[63:64], v[55:56], s[4:5], v[63:64]
	v_fma_f64 v[55:56], v[55:56], s[4:5], v[30:31]
	v_fma_f64 v[30:31], v[4:5], v[59:60], -v[50:51]
	v_fma_f64 v[20:21], v[20:21], v[59:60], v[61:62]
	v_add3_u32 v46, 0, v41, v70
	v_lshlrev_b32_e32 v41, 3, v69
	ds_write2_b64 v46, v[48:49], v[57:58] offset1:6
	ds_write2_b64 v46, v[63:64], v[55:56] offset0:12 offset1:18
	ds_write_b64 v46, v[52:53] offset:192
	s_and_saveexec_b64 s[16:17], vcc
	s_cbranch_execz .LBB0_31
; %bb.30:
	v_add_f64 v[4:5], v[38:39], v[30:31]
	v_add_f64 v[47:48], v[34:35], v[36:37]
	v_add_f64 v[51:52], v[32:33], -v[20:21]
	v_add_f64 v[55:56], v[2:3], v[38:39]
	v_add_f64 v[49:50], v[26:27], -v[24:25]
	v_add_f64 v[57:58], v[36:37], -v[30:31]
	;; [unrolled: 1-line block ×4, first 2 shown]
	v_fma_f64 v[4:5], v[4:5], -0.5, v[2:3]
	v_fma_f64 v[2:3], v[47:48], -0.5, v[2:3]
	v_add_f64 v[47:48], v[34:35], -v[38:39]
	v_add_f64 v[55:56], v[55:56], v[34:35]
	v_fma_f64 v[63:64], v[49:50], s[2:3], v[4:5]
	v_fma_f64 v[65:66], v[51:52], s[2:3], v[2:3]
	;; [unrolled: 1-line block ×4, first 2 shown]
	v_add_f64 v[47:48], v[47:48], v[57:58]
	v_add_f64 v[57:58], v[59:60], v[61:62]
	;; [unrolled: 1-line block ×3, first 2 shown]
	v_fma_f64 v[59:60], v[51:52], s[10:11], v[63:64]
	v_fma_f64 v[61:62], v[49:50], s[6:7], v[65:66]
	;; [unrolled: 1-line block ×4, first 2 shown]
	v_add_f64 v[49:50], v[55:56], v[30:31]
	v_fma_f64 v[51:52], v[47:48], s[4:5], v[59:60]
	v_fma_f64 v[55:56], v[57:58], s[4:5], v[61:62]
	;; [unrolled: 1-line block ×4, first 2 shown]
	v_lshlrev_b32_e32 v47, 3, v40
	v_add3_u32 v47, 0, v41, v47
	ds_write2_b64 v47, v[49:50], v[55:56] offset1:6
	ds_write2_b64 v47, v[4:5], v[51:52] offset0:12 offset1:18
	ds_write_b64 v47, v[2:3] offset:192
.LBB0_31:
	s_or_b64 exec, exec, s[16:17]
	v_add_f64 v[2:3], v[10:11], v[22:23]
	v_add_f64 v[4:5], v[6:7], v[18:19]
	;; [unrolled: 1-line block ×3, first 2 shown]
	v_add_f64 v[8:9], v[8:9], -v[28:29]
	v_add_f64 v[14:15], v[14:15], -v[16:17]
	;; [unrolled: 1-line block ×5, first 2 shown]
	v_fma_f64 v[2:3], v[2:3], -0.5, v[0:1]
	v_fma_f64 v[0:1], v[4:5], -0.5, v[0:1]
	v_add_f64 v[4:5], v[18:19], -v[22:23]
	v_add_f64 v[10:11], v[47:48], v[10:11]
	s_waitcnt lgkmcnt(0)
	s_barrier
	v_add_f64 v[6:7], v[6:7], v[28:29]
	v_fma_f64 v[47:48], v[8:9], s[14:15], v[2:3]
	v_fma_f64 v[49:50], v[14:15], s[2:3], v[0:1]
	;; [unrolled: 1-line block ×4, first 2 shown]
	v_add_f64 v[4:5], v[16:17], v[4:5]
	v_add_f64 v[10:11], v[10:11], v[22:23]
	v_lshl_add_u32 v16, v45, 3, 0
	v_add_u32_e32 v17, 0xc00, v16
	v_fma_f64 v[22:23], v[14:15], s[10:11], v[47:48]
	v_fma_f64 v[28:29], v[8:9], s[10:11], v[49:50]
	;; [unrolled: 1-line block ×4, first 2 shown]
	ds_read2_b64 v[0:3], v54 offset1:210
	v_add_f64 v[47:48], v[10:11], v[18:19]
	v_add_u32_e32 v18, 0x1a00, v54
	v_fma_f64 v[22:23], v[4:5], s[4:5], v[22:23]
	v_fma_f64 v[28:29], v[6:7], s[4:5], v[28:29]
	;; [unrolled: 1-line block ×4, first 2 shown]
	ds_read2_b64 v[8:11], v17 offset0:36 offset1:246
	ds_read2_b64 v[4:7], v18 offset0:8 offset1:218
	ds_read_b64 v[14:15], v54 offset:10080
	s_waitcnt lgkmcnt(0)
	s_barrier
	ds_write2_b64 v46, v[47:48], v[22:23] offset1:6
	ds_write2_b64 v46, v[28:29], v[51:52] offset0:12 offset1:18
	ds_write_b64 v46, v[49:50] offset:192
	s_and_saveexec_b64 s[2:3], vcc
	s_cbranch_execz .LBB0_33
; %bb.32:
	v_add_f64 v[22:23], v[26:27], v[24:25]
	v_add_f64 v[30:31], v[38:39], -v[30:31]
	v_add_f64 v[38:39], v[32:33], v[20:21]
	v_add_f64 v[28:29], v[12:13], v[32:33]
	v_add_f64 v[34:35], v[34:35], -v[36:37]
	s_mov_b32 s4, 0x134454ff
	s_mov_b32 s5, 0xbfee6f0e
	v_add_f64 v[36:37], v[32:33], -v[26:27]
	v_fma_f64 v[22:23], v[22:23], -0.5, v[12:13]
	s_mov_b32 s11, 0x3fee6f0e
	v_fma_f64 v[12:13], v[38:39], -0.5, v[12:13]
	v_add_f64 v[38:39], v[20:21], -v[24:25]
	v_add_f64 v[32:33], v[26:27], -v[32:33]
	v_add_f64 v[26:27], v[28:29], v[26:27]
	s_mov_b32 s10, s4
	v_add_f64 v[46:47], v[24:25], -v[20:21]
	v_fma_f64 v[28:29], v[30:31], s[4:5], v[22:23]
	v_fma_f64 v[22:23], v[30:31], s[10:11], v[22:23]
	;; [unrolled: 1-line block ×4, first 2 shown]
	s_mov_b32 s6, 0x4755a5e
	s_mov_b32 s7, 0xbfe2cf23
	v_add_f64 v[36:37], v[36:37], v[38:39]
	v_add_f64 v[24:25], v[26:27], v[24:25]
	v_fma_f64 v[26:27], v[34:35], s[6:7], v[28:29]
	s_mov_b32 s5, 0x3fe2cf23
	s_mov_b32 s4, s6
	v_fma_f64 v[28:29], v[30:31], s[6:7], v[48:49]
	v_add_f64 v[32:33], v[32:33], v[46:47]
	v_fma_f64 v[12:13], v[30:31], s[4:5], v[12:13]
	v_fma_f64 v[22:23], v[34:35], s[4:5], v[22:23]
	s_mov_b32 s4, 0x372fe950
	s_mov_b32 s5, 0x3fd3c6ef
	v_add_f64 v[19:20], v[24:25], v[20:21]
	v_fma_f64 v[24:25], v[36:37], s[4:5], v[26:27]
	v_fma_f64 v[26:27], v[32:33], s[4:5], v[28:29]
	;; [unrolled: 1-line block ×4, first 2 shown]
	v_lshlrev_b32_e32 v23, 3, v40
	v_add3_u32 v23, 0, v41, v23
	ds_write2_b64 v23, v[19:20], v[24:25] offset1:6
	ds_write2_b64 v23, v[26:27], v[12:13] offset0:12 offset1:18
	ds_write_b64 v23, v[21:22] offset:192
.LBB0_33:
	s_or_b64 exec, exec, s[2:3]
	s_movk_i32 s2, 0x89
	v_mul_lo_u16_sdwa v12, v45, s2 dst_sel:DWORD dst_unused:UNUSED_PAD src0_sel:BYTE_0 src1_sel:DWORD
	v_lshrrev_b16_e32 v39, 12, v12
	v_mul_lo_u16_e32 v12, 30, v39
	v_sub_u16_e32 v40, v45, v12
	v_mov_b32_e32 v12, 6
	v_mul_u32_u24_sdwa v12, v40, v12 dst_sel:DWORD dst_unused:UNUSED_PAD src0_sel:BYTE_0 src1_sel:DWORD
	v_lshlrev_b32_e32 v12, 4, v12
	s_waitcnt lgkmcnt(0)
	s_barrier
	global_load_dwordx4 v[19:22], v12, s[8:9] offset:448
	global_load_dwordx4 v[23:26], v12, s[8:9] offset:464
	;; [unrolled: 1-line block ×6, first 2 shown]
	ds_read2_b64 v[50:53], v54 offset1:210
	ds_read2_b64 v[55:58], v17 offset0:36 offset1:246
	ds_read2_b64 v[59:62], v18 offset0:8 offset1:218
	ds_read_b64 v[12:13], v54 offset:10080
	v_mov_b32_e32 v41, 3
	v_mul_u32_u24_e32 v39, 0x690, v39
	v_lshlrev_b32_sdwa v40, v41, v40 dst_sel:DWORD dst_unused:UNUSED_PAD src0_sel:DWORD src1_sel:BYTE_0
	v_add3_u32 v41, 0, v39, v40
	s_mov_b32 s4, 0x37e14327
	s_mov_b32 s2, 0x36b3c0b5
	;; [unrolled: 1-line block ×20, first 2 shown]
	s_waitcnt vmcnt(0) lgkmcnt(0)
	s_barrier
	v_mul_f64 v[39:40], v[52:53], v[21:22]
	v_mul_f64 v[21:22], v[2:3], v[21:22]
	;; [unrolled: 1-line block ×8, first 2 shown]
	v_fma_f64 v[2:3], v[2:3], v[19:20], -v[39:40]
	v_fma_f64 v[19:20], v[52:53], v[19:20], v[21:22]
	v_mul_f64 v[21:22], v[6:7], v[48:49]
	v_mul_f64 v[29:30], v[10:11], v[29:30]
	;; [unrolled: 1-line block ×4, first 2 shown]
	v_fma_f64 v[8:9], v[8:9], v[23:24], -v[63:64]
	v_fma_f64 v[14:15], v[14:15], v[35:36], -v[69:70]
	;; [unrolled: 1-line block ×3, first 2 shown]
	v_fma_f64 v[23:24], v[55:56], v[23:24], v[25:26]
	v_fma_f64 v[12:13], v[12:13], v[35:36], v[37:38]
	;; [unrolled: 1-line block ×3, first 2 shown]
	v_fma_f64 v[10:11], v[10:11], v[27:28], -v[65:66]
	v_fma_f64 v[25:26], v[57:58], v[27:28], v[29:30]
	v_fma_f64 v[4:5], v[4:5], v[31:32], -v[67:68]
	v_fma_f64 v[27:28], v[59:60], v[31:32], v[33:34]
	v_add_f64 v[29:30], v[2:3], v[14:15]
	v_add_f64 v[2:3], v[2:3], -v[14:15]
	v_add_f64 v[14:15], v[8:9], v[6:7]
	v_add_f64 v[31:32], v[19:20], v[12:13]
	v_add_f64 v[12:13], v[19:20], -v[12:13]
	v_add_f64 v[19:20], v[23:24], v[21:22]
	v_add_f64 v[6:7], v[8:9], -v[6:7]
	v_add_f64 v[8:9], v[23:24], -v[21:22]
	v_add_f64 v[21:22], v[10:11], v[4:5]
	v_add_f64 v[23:24], v[25:26], v[27:28]
	v_add_f64 v[4:5], v[4:5], -v[10:11]
	v_add_f64 v[10:11], v[27:28], -v[25:26]
	v_add_f64 v[25:26], v[14:15], v[29:30]
	v_add_f64 v[27:28], v[19:20], v[31:32]
	v_add_f64 v[33:34], v[14:15], -v[29:30]
	v_add_f64 v[35:36], v[19:20], -v[31:32]
	;; [unrolled: 1-line block ×6, first 2 shown]
	v_add_f64 v[39:40], v[10:11], v[8:9]
	v_add_f64 v[48:49], v[10:11], -v[8:9]
	v_add_f64 v[8:9], v[8:9], -v[12:13]
	v_add_f64 v[21:22], v[21:22], v[25:26]
	v_add_f64 v[23:24], v[23:24], v[27:28]
	;; [unrolled: 1-line block ×3, first 2 shown]
	v_add_f64 v[46:47], v[4:5], -v[6:7]
	v_add_f64 v[10:11], v[12:13], -v[10:11]
	;; [unrolled: 1-line block ×3, first 2 shown]
	v_add_f64 v[12:13], v[39:40], v[12:13]
	v_mul_f64 v[25:26], v[29:30], s[4:5]
	v_mul_f64 v[27:28], v[31:32], s[4:5]
	;; [unrolled: 1-line block ×5, first 2 shown]
	v_add_f64 v[0:1], v[0:1], v[21:22]
	v_mul_f64 v[29:30], v[14:15], s[2:3]
	v_add_f64 v[50:51], v[50:51], v[23:24]
	v_add_f64 v[4:5], v[2:3], -v[4:5]
	v_add_f64 v[2:3], v[37:38], v[2:3]
	v_mul_f64 v[37:38], v[46:47], s[14:15]
	v_mul_f64 v[46:47], v[6:7], s[6:7]
	v_fma_f64 v[14:15], v[14:15], s[2:3], v[25:26]
	v_fma_f64 v[19:20], v[19:20], s[2:3], v[27:28]
	v_fma_f64 v[31:32], v[35:36], s[16:17], -v[31:32]
	v_fma_f64 v[27:28], v[35:36], s[18:19], -v[27:28]
	v_fma_f64 v[35:36], v[10:11], s[20:21], v[39:40]
	v_fma_f64 v[8:9], v[8:9], s[6:7], -v[39:40]
	v_fma_f64 v[10:11], v[10:11], s[24:25], -v[48:49]
	;; [unrolled: 3-line block ×3, first 2 shown]
	v_fma_f64 v[23:24], v[23:24], s[10:11], v[50:51]
	v_fma_f64 v[33:34], v[4:5], s[20:21], v[37:38]
	v_fma_f64 v[4:5], v[4:5], s[24:25], -v[46:47]
	v_fma_f64 v[6:7], v[6:7], s[6:7], -v[37:38]
	v_fma_f64 v[35:36], v[12:13], s[22:23], v[35:36]
	v_fma_f64 v[8:9], v[12:13], s[22:23], v[8:9]
	;; [unrolled: 1-line block ×3, first 2 shown]
	v_add_f64 v[12:13], v[14:15], v[21:22]
	v_add_f64 v[14:15], v[19:20], v[23:24]
	;; [unrolled: 1-line block ×4, first 2 shown]
	v_fma_f64 v[33:34], v[2:3], s[22:23], v[33:34]
	v_fma_f64 v[4:5], v[2:3], s[22:23], v[4:5]
	v_add_f64 v[25:26], v[27:28], v[23:24]
	v_fma_f64 v[2:3], v[2:3], s[22:23], v[6:7]
	v_add_f64 v[6:7], v[31:32], v[23:24]
	v_add_f64 v[23:24], v[35:36], v[12:13]
	v_add_f64 v[29:30], v[10:11], v[19:20]
	v_add_f64 v[37:38], v[21:22], -v[8:9]
	v_add_f64 v[8:9], v[8:9], v[21:22]
	v_add_f64 v[10:11], v[19:20], -v[10:11]
	v_add_f64 v[12:13], v[12:13], -v[35:36]
	;; [unrolled: 1-line block ×4, first 2 shown]
	v_add_f64 v[19:20], v[2:3], v[6:7]
	v_add_f64 v[21:22], v[6:7], -v[2:3]
	v_add_f64 v[25:26], v[4:5], v[25:26]
	ds_write2_b64 v41, v[0:1], v[23:24] offset1:30
	ds_write2_b64 v41, v[29:30], v[37:38] offset0:60 offset1:90
	ds_write2_b64 v41, v[8:9], v[10:11] offset0:120 offset1:150
	ds_write_b64 v41, v[12:13] offset:1440
	s_waitcnt lgkmcnt(0)
	s_barrier
	ds_read2_b64 v[0:3], v54 offset1:210
	ds_read2_b64 v[8:11], v17 offset0:36 offset1:246
	ds_read2_b64 v[4:7], v18 offset0:8 offset1:218
	ds_read_b64 v[12:13], v54 offset:10080
	v_add_f64 v[14:15], v[33:34], v[14:15]
	s_waitcnt lgkmcnt(0)
	s_barrier
	ds_write2_b64 v41, v[50:51], v[27:28] offset1:30
	ds_write2_b64 v41, v[31:32], v[19:20] offset0:60 offset1:90
	ds_write2_b64 v41, v[21:22], v[25:26] offset0:120 offset1:150
	ds_write_b64 v41, v[14:15] offset:1440
	s_waitcnt lgkmcnt(0)
	s_barrier
	s_and_saveexec_b64 s[26:27], s[0:1]
	s_cbranch_execz .LBB0_35
; %bb.34:
	v_mul_u32_u24_e32 v14, 6, v45
	v_lshlrev_b32_e32 v14, 4, v14
	global_load_dwordx4 v[17:20], v14, s[8:9] offset:3376
	global_load_dwordx4 v[21:24], v14, s[8:9] offset:3360
	;; [unrolled: 1-line block ×6, first 2 shown]
	v_add_u32_e32 v41, 0x1a00, v54
	v_add_u32_e32 v16, 0xc00, v16
	ds_read2_b64 v[46:49], v54 offset1:210
	ds_read_b64 v[14:15], v54 offset:10080
	ds_read2_b64 v[50:53], v41 offset0:8 offset1:218
	ds_read2_b64 v[54:57], v16 offset0:36 offset1:246
	v_mov_b32_e32 v45, 0
	v_mov_b32_e32 v58, s13
	v_add_co_u32_e32 v16, vcc, s12, v42
	v_lshlrev_b64 v[41:42], 4, v[44:45]
	v_addc_co_u32_e32 v43, vcc, v58, v43, vcc
	v_add_co_u32_e32 v41, vcc, v16, v41
	s_movk_i32 s0, 0x1000
	v_addc_co_u32_e32 v42, vcc, v43, v42, vcc
	v_add_co_u32_e32 v43, vcc, s0, v41
	s_movk_i32 s1, 0x2000
	v_addc_co_u32_e32 v44, vcc, 0, v42, vcc
	v_add_co_u32_e32 v58, vcc, s1, v41
	v_addc_co_u32_e32 v59, vcc, 0, v42, vcc
	v_add_co_u32_e32 v60, vcc, 0x3000, v41
	v_addc_co_u32_e32 v61, vcc, 0, v42, vcc
	s_waitcnt vmcnt(5) lgkmcnt(1)
	v_mul_f64 v[62:63], v[50:51], v[19:20]
	s_waitcnt vmcnt(4) lgkmcnt(0)
	v_mul_f64 v[64:65], v[56:57], v[23:24]
	s_waitcnt vmcnt(3)
	v_mul_f64 v[66:67], v[54:55], v[27:28]
	s_waitcnt vmcnt(2)
	;; [unrolled: 2-line block ×4, first 2 shown]
	v_mul_f64 v[72:73], v[14:15], v[39:40]
	v_mul_f64 v[23:24], v[10:11], v[23:24]
	v_mul_f64 v[19:20], v[4:5], v[19:20]
	v_mul_f64 v[27:28], v[8:9], v[27:28]
	v_mul_f64 v[31:32], v[6:7], v[31:32]
	v_mul_f64 v[35:36], v[2:3], v[35:36]
	v_mul_f64 v[39:40], v[12:13], v[39:40]
	v_fma_f64 v[10:11], v[10:11], v[21:22], -v[64:65]
	v_fma_f64 v[8:9], v[8:9], v[25:26], -v[66:67]
	;; [unrolled: 1-line block ×6, first 2 shown]
	v_fma_f64 v[21:22], v[21:22], v[56:57], v[23:24]
	v_fma_f64 v[16:17], v[17:18], v[50:51], v[19:20]
	;; [unrolled: 1-line block ×6, first 2 shown]
	v_add_f64 v[30:31], v[8:9], -v[6:7]
	v_add_f64 v[32:33], v[2:3], -v[12:13]
	v_add_f64 v[6:7], v[8:9], v[6:7]
	v_add_f64 v[2:3], v[2:3], v[12:13]
	v_add_f64 v[28:29], v[4:5], -v[10:11]
	v_add_f64 v[36:37], v[18:19], v[23:24]
	v_add_f64 v[34:35], v[16:17], v[21:22]
	;; [unrolled: 1-line block ×4, first 2 shown]
	v_add_f64 v[8:9], v[16:17], -v[21:22]
	v_add_f64 v[10:11], v[18:19], -v[23:24]
	;; [unrolled: 1-line block ×3, first 2 shown]
	v_add_f64 v[50:51], v[6:7], v[2:3]
	v_add_f64 v[14:15], v[28:29], v[30:31]
	v_add_f64 v[16:17], v[28:29], -v[30:31]
	v_add_f64 v[24:25], v[36:37], v[38:39]
	v_add_f64 v[18:19], v[32:33], -v[28:29]
	v_add_f64 v[20:21], v[34:35], -v[36:37]
	;; [unrolled: 1-line block ×5, first 2 shown]
	v_add_f64 v[52:53], v[8:9], v[10:11]
	v_add_f64 v[54:55], v[8:9], -v[10:11]
	v_add_f64 v[30:31], v[30:31], -v[32:33]
	v_add_f64 v[10:11], v[10:11], -v[12:13]
	v_add_f64 v[24:25], v[34:35], v[24:25]
	v_add_f64 v[4:5], v[4:5], v[50:51]
	v_add_f64 v[8:9], v[12:13], -v[8:9]
	v_add_f64 v[36:37], v[36:37], -v[38:39]
	;; [unrolled: 1-line block ×3, first 2 shown]
	v_add_f64 v[14:15], v[14:15], v[32:33]
	v_mul_f64 v[16:17], v[16:17], s[14:15]
	v_mul_f64 v[32:33], v[20:21], s[2:3]
	;; [unrolled: 1-line block ×5, first 2 shown]
	v_add_f64 v[12:13], v[52:53], v[12:13]
	v_mul_f64 v[48:49], v[54:55], s[14:15]
	v_mul_f64 v[50:51], v[30:31], s[6:7]
	;; [unrolled: 1-line block ×3, first 2 shown]
	v_add_f64 v[2:3], v[46:47], v[24:25]
	v_add_f64 v[0:1], v[0:1], v[4:5]
	v_fma_f64 v[54:55], v[18:19], s[20:21], v[16:17]
	v_fma_f64 v[20:21], v[20:21], s[2:3], v[22:23]
	;; [unrolled: 1-line block ×4, first 2 shown]
	v_fma_f64 v[18:19], v[18:19], s[24:25], -v[50:51]
	v_fma_f64 v[22:23], v[36:37], s[18:19], -v[22:23]
	;; [unrolled: 1-line block ×7, first 2 shown]
	v_fma_f64 v[24:25], v[24:25], s[10:11], v[2:3]
	v_fma_f64 v[6:7], v[6:7], s[16:17], -v[34:35]
	v_fma_f64 v[4:5], v[4:5], s[10:11], v[0:1]
	v_fma_f64 v[30:31], v[14:15], s[22:23], v[54:55]
	;; [unrolled: 1-line block ×6, first 2 shown]
	v_add_f64 v[14:15], v[32:33], v[24:25]
	v_fma_f64 v[16:17], v[12:13], s[22:23], v[10:11]
	v_add_f64 v[22:23], v[22:23], v[24:25]
	v_add_f64 v[18:19], v[20:21], v[24:25]
	;; [unrolled: 1-line block ×5, first 2 shown]
	global_store_dwordx4 v[41:42], v[0:3], off
	v_add_f64 v[6:7], v[8:9], v[14:15]
	v_add_f64 v[2:3], v[14:15], -v[8:9]
	v_add_f64 v[10:11], v[22:23], -v[36:37]
	;; [unrolled: 1-line block ×3, first 2 shown]
	v_add_f64 v[12:13], v[34:35], v[20:21]
	v_add_f64 v[22:23], v[36:37], v[22:23]
	v_add_f64 v[4:5], v[28:29], -v[16:17]
	v_add_f64 v[0:1], v[16:17], v[28:29]
	v_add_f64 v[16:17], v[20:21], -v[34:35]
	v_add_f64 v[20:21], v[24:25], -v[45:46]
	v_add_f64 v[8:9], v[45:46], v[24:25]
	v_add_f64 v[18:19], v[30:31], v[18:19]
	v_add_co_u32_e32 v27, vcc, 0x4000, v41
	v_addc_co_u32_e32 v28, vcc, 0, v42, vcc
	global_store_dwordx4 v[41:42], v[12:15], off offset:3360
	global_store_dwordx4 v[43:44], v[8:11], off offset:2624
	global_store_dwordx4 v[58:59], v[4:7], off offset:1888
	global_store_dwordx4 v[60:61], v[0:3], off offset:1152
	global_store_dwordx4 v[27:28], v[20:23], off offset:416
	global_store_dwordx4 v[27:28], v[16:19], off offset:3776
.LBB0_35:
	s_endpgm
	.section	.rodata,"a",@progbits
	.p2align	6, 0x0
	.amdhsa_kernel fft_rtc_fwd_len1470_factors_2_3_5_7_7_wgs_210_tpt_210_halfLds_dp_ip_CI_unitstride_sbrr_dirReg
		.amdhsa_group_segment_fixed_size 0
		.amdhsa_private_segment_fixed_size 0
		.amdhsa_kernarg_size 88
		.amdhsa_user_sgpr_count 6
		.amdhsa_user_sgpr_private_segment_buffer 1
		.amdhsa_user_sgpr_dispatch_ptr 0
		.amdhsa_user_sgpr_queue_ptr 0
		.amdhsa_user_sgpr_kernarg_segment_ptr 1
		.amdhsa_user_sgpr_dispatch_id 0
		.amdhsa_user_sgpr_flat_scratch_init 0
		.amdhsa_user_sgpr_private_segment_size 0
		.amdhsa_uses_dynamic_stack 0
		.amdhsa_system_sgpr_private_segment_wavefront_offset 0
		.amdhsa_system_sgpr_workgroup_id_x 1
		.amdhsa_system_sgpr_workgroup_id_y 0
		.amdhsa_system_sgpr_workgroup_id_z 0
		.amdhsa_system_sgpr_workgroup_info 0
		.amdhsa_system_vgpr_workitem_id 0
		.amdhsa_next_free_vgpr 78
		.amdhsa_next_free_sgpr 28
		.amdhsa_reserve_vcc 1
		.amdhsa_reserve_flat_scratch 0
		.amdhsa_float_round_mode_32 0
		.amdhsa_float_round_mode_16_64 0
		.amdhsa_float_denorm_mode_32 3
		.amdhsa_float_denorm_mode_16_64 3
		.amdhsa_dx10_clamp 1
		.amdhsa_ieee_mode 1
		.amdhsa_fp16_overflow 0
		.amdhsa_exception_fp_ieee_invalid_op 0
		.amdhsa_exception_fp_denorm_src 0
		.amdhsa_exception_fp_ieee_div_zero 0
		.amdhsa_exception_fp_ieee_overflow 0
		.amdhsa_exception_fp_ieee_underflow 0
		.amdhsa_exception_fp_ieee_inexact 0
		.amdhsa_exception_int_div_zero 0
	.end_amdhsa_kernel
	.text
.Lfunc_end0:
	.size	fft_rtc_fwd_len1470_factors_2_3_5_7_7_wgs_210_tpt_210_halfLds_dp_ip_CI_unitstride_sbrr_dirReg, .Lfunc_end0-fft_rtc_fwd_len1470_factors_2_3_5_7_7_wgs_210_tpt_210_halfLds_dp_ip_CI_unitstride_sbrr_dirReg
                                        ; -- End function
	.section	.AMDGPU.csdata,"",@progbits
; Kernel info:
; codeLenInByte = 6928
; NumSgprs: 32
; NumVgprs: 78
; ScratchSize: 0
; MemoryBound: 1
; FloatMode: 240
; IeeeMode: 1
; LDSByteSize: 0 bytes/workgroup (compile time only)
; SGPRBlocks: 3
; VGPRBlocks: 19
; NumSGPRsForWavesPerEU: 32
; NumVGPRsForWavesPerEU: 78
; Occupancy: 3
; WaveLimiterHint : 1
; COMPUTE_PGM_RSRC2:SCRATCH_EN: 0
; COMPUTE_PGM_RSRC2:USER_SGPR: 6
; COMPUTE_PGM_RSRC2:TRAP_HANDLER: 0
; COMPUTE_PGM_RSRC2:TGID_X_EN: 1
; COMPUTE_PGM_RSRC2:TGID_Y_EN: 0
; COMPUTE_PGM_RSRC2:TGID_Z_EN: 0
; COMPUTE_PGM_RSRC2:TIDIG_COMP_CNT: 0
	.type	__hip_cuid_ee0bb391927a8b7d,@object ; @__hip_cuid_ee0bb391927a8b7d
	.section	.bss,"aw",@nobits
	.globl	__hip_cuid_ee0bb391927a8b7d
__hip_cuid_ee0bb391927a8b7d:
	.byte	0                               ; 0x0
	.size	__hip_cuid_ee0bb391927a8b7d, 1

	.ident	"AMD clang version 19.0.0git (https://github.com/RadeonOpenCompute/llvm-project roc-6.4.0 25133 c7fe45cf4b819c5991fe208aaa96edf142730f1d)"
	.section	".note.GNU-stack","",@progbits
	.addrsig
	.addrsig_sym __hip_cuid_ee0bb391927a8b7d
	.amdgpu_metadata
---
amdhsa.kernels:
  - .args:
      - .actual_access:  read_only
        .address_space:  global
        .offset:         0
        .size:           8
        .value_kind:     global_buffer
      - .offset:         8
        .size:           8
        .value_kind:     by_value
      - .actual_access:  read_only
        .address_space:  global
        .offset:         16
        .size:           8
        .value_kind:     global_buffer
      - .actual_access:  read_only
        .address_space:  global
        .offset:         24
        .size:           8
        .value_kind:     global_buffer
      - .offset:         32
        .size:           8
        .value_kind:     by_value
      - .actual_access:  read_only
        .address_space:  global
        .offset:         40
        .size:           8
        .value_kind:     global_buffer
      - .actual_access:  read_only
        .address_space:  global
        .offset:         48
        .size:           8
        .value_kind:     global_buffer
      - .offset:         56
        .size:           4
        .value_kind:     by_value
      - .actual_access:  read_only
        .address_space:  global
        .offset:         64
        .size:           8
        .value_kind:     global_buffer
      - .actual_access:  read_only
        .address_space:  global
        .offset:         72
        .size:           8
        .value_kind:     global_buffer
      - .address_space:  global
        .offset:         80
        .size:           8
        .value_kind:     global_buffer
    .group_segment_fixed_size: 0
    .kernarg_segment_align: 8
    .kernarg_segment_size: 88
    .language:       OpenCL C
    .language_version:
      - 2
      - 0
    .max_flat_workgroup_size: 210
    .name:           fft_rtc_fwd_len1470_factors_2_3_5_7_7_wgs_210_tpt_210_halfLds_dp_ip_CI_unitstride_sbrr_dirReg
    .private_segment_fixed_size: 0
    .sgpr_count:     32
    .sgpr_spill_count: 0
    .symbol:         fft_rtc_fwd_len1470_factors_2_3_5_7_7_wgs_210_tpt_210_halfLds_dp_ip_CI_unitstride_sbrr_dirReg.kd
    .uniform_work_group_size: 1
    .uses_dynamic_stack: false
    .vgpr_count:     78
    .vgpr_spill_count: 0
    .wavefront_size: 64
amdhsa.target:   amdgcn-amd-amdhsa--gfx906
amdhsa.version:
  - 1
  - 2
...

	.end_amdgpu_metadata
